;; amdgpu-corpus repo=ROCm/rocFFT kind=compiled arch=gfx1030 opt=O3
	.text
	.amdgcn_target "amdgcn-amd-amdhsa--gfx1030"
	.amdhsa_code_object_version 6
	.protected	fft_rtc_fwd_len270_factors_10_3_3_3_wgs_108_tpt_27_halfLds_dp_op_CI_CI_unitstride_sbrr_R2C_dirReg ; -- Begin function fft_rtc_fwd_len270_factors_10_3_3_3_wgs_108_tpt_27_halfLds_dp_op_CI_CI_unitstride_sbrr_R2C_dirReg
	.globl	fft_rtc_fwd_len270_factors_10_3_3_3_wgs_108_tpt_27_halfLds_dp_op_CI_CI_unitstride_sbrr_R2C_dirReg
	.p2align	8
	.type	fft_rtc_fwd_len270_factors_10_3_3_3_wgs_108_tpt_27_halfLds_dp_op_CI_CI_unitstride_sbrr_R2C_dirReg,@function
fft_rtc_fwd_len270_factors_10_3_3_3_wgs_108_tpt_27_halfLds_dp_op_CI_CI_unitstride_sbrr_R2C_dirReg: ; @fft_rtc_fwd_len270_factors_10_3_3_3_wgs_108_tpt_27_halfLds_dp_op_CI_CI_unitstride_sbrr_R2C_dirReg
; %bb.0:
	s_clause 0x2
	s_load_dwordx4 s[12:15], s[4:5], 0x0
	s_load_dwordx4 s[8:11], s[4:5], 0x58
	;; [unrolled: 1-line block ×3, first 2 shown]
	v_mul_u32_u24_e32 v1, 0x97c, v0
	v_mov_b32_e32 v3, 0
	v_lshrrev_b32_e32 v7, 16, v1
	v_mov_b32_e32 v1, 0
	v_mov_b32_e32 v6, v3
	v_mov_b32_e32 v2, 0
	v_lshl_add_u32 v5, s6, 2, v7
	s_waitcnt lgkmcnt(0)
	v_cmp_lt_u64_e64 s0, s[14:15], 2
	s_and_b32 vcc_lo, exec_lo, s0
	s_cbranch_vccnz .LBB0_8
; %bb.1:
	s_load_dwordx2 s[0:1], s[4:5], 0x10
	v_mov_b32_e32 v1, 0
	v_mov_b32_e32 v2, 0
	s_add_u32 s2, s18, 8
	s_addc_u32 s3, s19, 0
	s_add_u32 s6, s16, 8
	s_addc_u32 s7, s17, 0
	v_mov_b32_e32 v49, v2
	v_mov_b32_e32 v48, v1
	s_mov_b64 s[22:23], 1
	s_waitcnt lgkmcnt(0)
	s_add_u32 s20, s0, 8
	s_addc_u32 s21, s1, 0
.LBB0_2:                                ; =>This Inner Loop Header: Depth=1
	s_load_dwordx2 s[24:25], s[20:21], 0x0
                                        ; implicit-def: $vgpr52_vgpr53
	s_mov_b32 s0, exec_lo
	s_waitcnt lgkmcnt(0)
	v_or_b32_e32 v4, s25, v6
	v_cmpx_ne_u64_e32 0, v[3:4]
	s_xor_b32 s1, exec_lo, s0
	s_cbranch_execz .LBB0_4
; %bb.3:                                ;   in Loop: Header=BB0_2 Depth=1
	v_cvt_f32_u32_e32 v4, s24
	v_cvt_f32_u32_e32 v8, s25
	s_sub_u32 s0, 0, s24
	s_subb_u32 s26, 0, s25
	v_fmac_f32_e32 v4, 0x4f800000, v8
	v_rcp_f32_e32 v4, v4
	v_mul_f32_e32 v4, 0x5f7ffffc, v4
	v_mul_f32_e32 v8, 0x2f800000, v4
	v_trunc_f32_e32 v8, v8
	v_fmac_f32_e32 v4, 0xcf800000, v8
	v_cvt_u32_f32_e32 v8, v8
	v_cvt_u32_f32_e32 v4, v4
	v_mul_lo_u32 v9, s0, v8
	v_mul_hi_u32 v10, s0, v4
	v_mul_lo_u32 v11, s26, v4
	v_add_nc_u32_e32 v9, v10, v9
	v_mul_lo_u32 v10, s0, v4
	v_add_nc_u32_e32 v9, v9, v11
	v_mul_hi_u32 v11, v4, v10
	v_mul_lo_u32 v12, v4, v9
	v_mul_hi_u32 v13, v4, v9
	v_mul_hi_u32 v14, v8, v10
	v_mul_lo_u32 v10, v8, v10
	v_mul_hi_u32 v15, v8, v9
	v_mul_lo_u32 v9, v8, v9
	v_add_co_u32 v11, vcc_lo, v11, v12
	v_add_co_ci_u32_e32 v12, vcc_lo, 0, v13, vcc_lo
	v_add_co_u32 v10, vcc_lo, v11, v10
	v_add_co_ci_u32_e32 v10, vcc_lo, v12, v14, vcc_lo
	v_add_co_ci_u32_e32 v11, vcc_lo, 0, v15, vcc_lo
	v_add_co_u32 v9, vcc_lo, v10, v9
	v_add_co_ci_u32_e32 v10, vcc_lo, 0, v11, vcc_lo
	v_add_co_u32 v4, vcc_lo, v4, v9
	v_add_co_ci_u32_e32 v8, vcc_lo, v8, v10, vcc_lo
	v_mul_hi_u32 v9, s0, v4
	v_mul_lo_u32 v11, s26, v4
	v_mul_lo_u32 v10, s0, v8
	v_add_nc_u32_e32 v9, v9, v10
	v_mul_lo_u32 v10, s0, v4
	v_add_nc_u32_e32 v9, v9, v11
	v_mul_hi_u32 v11, v4, v10
	v_mul_lo_u32 v12, v4, v9
	v_mul_hi_u32 v13, v4, v9
	v_mul_hi_u32 v14, v8, v10
	v_mul_lo_u32 v10, v8, v10
	v_mul_hi_u32 v15, v8, v9
	v_mul_lo_u32 v9, v8, v9
	v_add_co_u32 v11, vcc_lo, v11, v12
	v_add_co_ci_u32_e32 v12, vcc_lo, 0, v13, vcc_lo
	v_add_co_u32 v10, vcc_lo, v11, v10
	v_add_co_ci_u32_e32 v10, vcc_lo, v12, v14, vcc_lo
	v_add_co_ci_u32_e32 v11, vcc_lo, 0, v15, vcc_lo
	v_add_co_u32 v9, vcc_lo, v10, v9
	v_add_co_ci_u32_e32 v10, vcc_lo, 0, v11, vcc_lo
	v_add_co_u32 v4, vcc_lo, v4, v9
	v_add_co_ci_u32_e32 v12, vcc_lo, v8, v10, vcc_lo
	v_mul_hi_u32 v14, v5, v4
	v_mad_u64_u32 v[10:11], null, v6, v4, 0
	v_mad_u64_u32 v[8:9], null, v5, v12, 0
	v_mad_u64_u32 v[12:13], null, v6, v12, 0
	v_add_co_u32 v4, vcc_lo, v14, v8
	v_add_co_ci_u32_e32 v8, vcc_lo, 0, v9, vcc_lo
	v_add_co_u32 v4, vcc_lo, v4, v10
	v_add_co_ci_u32_e32 v4, vcc_lo, v8, v11, vcc_lo
	v_add_co_ci_u32_e32 v8, vcc_lo, 0, v13, vcc_lo
	v_add_co_u32 v4, vcc_lo, v4, v12
	v_add_co_ci_u32_e32 v10, vcc_lo, 0, v8, vcc_lo
	v_mul_lo_u32 v11, s25, v4
	v_mad_u64_u32 v[8:9], null, s24, v4, 0
	v_mul_lo_u32 v12, s24, v10
	v_sub_co_u32 v8, vcc_lo, v5, v8
	v_add3_u32 v9, v9, v12, v11
	v_sub_nc_u32_e32 v11, v6, v9
	v_subrev_co_ci_u32_e64 v11, s0, s25, v11, vcc_lo
	v_add_co_u32 v12, s0, v4, 2
	v_add_co_ci_u32_e64 v13, s0, 0, v10, s0
	v_sub_co_u32 v14, s0, v8, s24
	v_sub_co_ci_u32_e32 v9, vcc_lo, v6, v9, vcc_lo
	v_subrev_co_ci_u32_e64 v11, s0, 0, v11, s0
	v_cmp_le_u32_e32 vcc_lo, s24, v14
	v_cmp_eq_u32_e64 s0, s25, v9
	v_cndmask_b32_e64 v14, 0, -1, vcc_lo
	v_cmp_le_u32_e32 vcc_lo, s25, v11
	v_cndmask_b32_e64 v15, 0, -1, vcc_lo
	v_cmp_le_u32_e32 vcc_lo, s24, v8
	;; [unrolled: 2-line block ×3, first 2 shown]
	v_cndmask_b32_e64 v16, 0, -1, vcc_lo
	v_cmp_eq_u32_e32 vcc_lo, s25, v11
	v_cndmask_b32_e64 v8, v16, v8, s0
	v_cndmask_b32_e32 v11, v15, v14, vcc_lo
	v_add_co_u32 v14, vcc_lo, v4, 1
	v_add_co_ci_u32_e32 v15, vcc_lo, 0, v10, vcc_lo
	v_cmp_ne_u32_e32 vcc_lo, 0, v11
	v_cndmask_b32_e32 v9, v15, v13, vcc_lo
	v_cndmask_b32_e32 v11, v14, v12, vcc_lo
	v_cmp_ne_u32_e32 vcc_lo, 0, v8
	v_cndmask_b32_e32 v53, v10, v9, vcc_lo
	v_cndmask_b32_e32 v52, v4, v11, vcc_lo
.LBB0_4:                                ;   in Loop: Header=BB0_2 Depth=1
	s_andn2_saveexec_b32 s0, s1
	s_cbranch_execz .LBB0_6
; %bb.5:                                ;   in Loop: Header=BB0_2 Depth=1
	v_cvt_f32_u32_e32 v4, s24
	s_sub_i32 s1, 0, s24
	v_mov_b32_e32 v53, v3
	v_rcp_iflag_f32_e32 v4, v4
	v_mul_f32_e32 v4, 0x4f7ffffe, v4
	v_cvt_u32_f32_e32 v4, v4
	v_mul_lo_u32 v8, s1, v4
	v_mul_hi_u32 v8, v4, v8
	v_add_nc_u32_e32 v4, v4, v8
	v_mul_hi_u32 v4, v5, v4
	v_mul_lo_u32 v8, v4, s24
	v_add_nc_u32_e32 v9, 1, v4
	v_sub_nc_u32_e32 v8, v5, v8
	v_subrev_nc_u32_e32 v10, s24, v8
	v_cmp_le_u32_e32 vcc_lo, s24, v8
	v_cndmask_b32_e32 v8, v8, v10, vcc_lo
	v_cndmask_b32_e32 v4, v4, v9, vcc_lo
	v_cmp_le_u32_e32 vcc_lo, s24, v8
	v_add_nc_u32_e32 v9, 1, v4
	v_cndmask_b32_e32 v52, v4, v9, vcc_lo
.LBB0_6:                                ;   in Loop: Header=BB0_2 Depth=1
	s_or_b32 exec_lo, exec_lo, s0
	v_mul_lo_u32 v4, v53, s24
	v_mul_lo_u32 v10, v52, s25
	s_load_dwordx2 s[0:1], s[6:7], 0x0
	v_mad_u64_u32 v[8:9], null, v52, s24, 0
	s_load_dwordx2 s[24:25], s[2:3], 0x0
	s_add_u32 s22, s22, 1
	s_addc_u32 s23, s23, 0
	s_add_u32 s2, s2, 8
	s_addc_u32 s3, s3, 0
	s_add_u32 s6, s6, 8
	v_add3_u32 v4, v9, v10, v4
	v_sub_co_u32 v5, vcc_lo, v5, v8
	s_addc_u32 s7, s7, 0
	s_add_u32 s20, s20, 8
	v_sub_co_ci_u32_e32 v4, vcc_lo, v6, v4, vcc_lo
	s_addc_u32 s21, s21, 0
	s_waitcnt lgkmcnt(0)
	v_mul_lo_u32 v6, s0, v4
	v_mul_lo_u32 v8, s1, v5
	v_mad_u64_u32 v[1:2], null, s0, v5, v[1:2]
	v_mul_lo_u32 v4, s24, v4
	v_mul_lo_u32 v9, s25, v5
	v_mad_u64_u32 v[48:49], null, s24, v5, v[48:49]
	v_cmp_ge_u64_e64 s0, s[22:23], s[14:15]
	v_add3_u32 v2, v8, v2, v6
	v_add3_u32 v49, v9, v49, v4
	s_and_b32 vcc_lo, exec_lo, s0
	s_cbranch_vccnz .LBB0_9
; %bb.7:                                ;   in Loop: Header=BB0_2 Depth=1
	v_mov_b32_e32 v5, v52
	v_mov_b32_e32 v6, v53
	s_branch .LBB0_2
.LBB0_8:
	v_mov_b32_e32 v49, v2
	v_mov_b32_e32 v53, v6
	;; [unrolled: 1-line block ×4, first 2 shown]
.LBB0_9:
	s_load_dwordx2 s[0:1], s[4:5], 0x28
	v_mul_hi_u32 v3, 0x97b425f, v0
	s_lshl_b64 s[4:5], s[14:15], 3
	v_and_b32_e32 v4, 3, v7
	s_add_u32 s2, s18, s4
	s_addc_u32 s3, s19, s5
                                        ; implicit-def: $vgpr50
                                        ; implicit-def: $vgpr54
                                        ; implicit-def: $vgpr57
                                        ; implicit-def: $vgpr56
	s_waitcnt lgkmcnt(0)
	v_cmp_gt_u64_e32 vcc_lo, s[0:1], v[52:53]
	v_cmp_le_u64_e64 s0, s[0:1], v[52:53]
	s_and_saveexec_b32 s1, s0
	s_xor_b32 s0, exec_lo, s1
; %bb.10:
	v_mul_u32_u24_e32 v1, 27, v3
                                        ; implicit-def: $vgpr3
	v_sub_nc_u32_e32 v50, v0, v1
                                        ; implicit-def: $vgpr0
                                        ; implicit-def: $vgpr1_vgpr2
	v_add_nc_u32_e32 v54, 27, v50
	v_add_nc_u32_e32 v57, 54, v50
	;; [unrolled: 1-line block ×3, first 2 shown]
; %bb.11:
	s_or_saveexec_b32 s1, s0
	v_mul_u32_u24_e32 v4, 0x10f, v4
	v_lshlrev_b32_e32 v60, 4, v4
	s_xor_b32 exec_lo, exec_lo, s1
	s_cbranch_execz .LBB0_13
; %bb.12:
	s_add_u32 s4, s16, s4
	s_addc_u32 s5, s17, s5
	v_lshlrev_b64 v[1:2], 4, v[1:2]
	s_load_dwordx2 s[4:5], s[4:5], 0x0
	s_waitcnt lgkmcnt(0)
	v_mul_lo_u32 v6, s5, v52
	v_mul_lo_u32 v7, s4, v53
	v_mad_u64_u32 v[4:5], null, s4, v52, 0
	v_add3_u32 v5, v5, v7, v6
	v_mul_u32_u24_e32 v6, 27, v3
	v_lshlrev_b64 v[3:4], 4, v[4:5]
	v_sub_nc_u32_e32 v50, v0, v6
	v_lshlrev_b32_e32 v40, 4, v50
	v_add_co_u32 v0, s0, s8, v3
	v_add_co_ci_u32_e64 v3, s0, s9, v4, s0
	v_add_nc_u32_e32 v54, 27, v50
	v_add_co_u32 v0, s0, v0, v1
	v_add_co_ci_u32_e64 v1, s0, v3, v2, s0
	v_add_nc_u32_e32 v57, 54, v50
	v_add_co_u32 v16, s0, v0, v40
	v_add_co_ci_u32_e64 v17, s0, 0, v1, s0
	v_add3_u32 v40, 0, v60, v40
	v_add_co_u32 v36, s0, 0x800, v16
	v_add_co_ci_u32_e64 v37, s0, 0, v17, s0
	s_clause 0x9
	global_load_dwordx4 v[0:3], v[16:17], off
	global_load_dwordx4 v[4:7], v[16:17], off offset:432
	global_load_dwordx4 v[8:11], v[16:17], off offset:864
	;; [unrolled: 1-line block ×9, first 2 shown]
	v_add_nc_u32_e32 v56, 0x51, v50
	s_waitcnt vmcnt(9)
	ds_write_b128 v40, v[0:3]
	s_waitcnt vmcnt(8)
	ds_write_b128 v40, v[4:7] offset:432
	s_waitcnt vmcnt(7)
	ds_write_b128 v40, v[8:11] offset:864
	;; [unrolled: 2-line block ×9, first 2 shown]
.LBB0_13:
	s_or_b32 exec_lo, exec_lo, s1
	v_lshlrev_b32_e32 v51, 4, v50
	s_load_dwordx2 s[2:3], s[2:3], 0x0
	s_waitcnt lgkmcnt(0)
	s_barrier
	buffer_gl0_inv
	v_add3_u32 v55, 0, v51, v60
	v_add_nc_u32_e32 v62, 0, v60
	s_mov_b32 s0, 0x134454ff
	s_mov_b32 s1, 0x3fee6f0e
	;; [unrolled: 1-line block ×3, first 2 shown]
	ds_read_b128 v[0:3], v55 offset:2160
	ds_read_b128 v[4:7], v55 offset:3024
	;; [unrolled: 1-line block ×4, first 2 shown]
	v_add_nc_u32_e32 v63, v62, v51
	ds_read_b128 v[16:19], v55 offset:1728
	ds_read_b128 v[20:23], v55 offset:2592
	;; [unrolled: 1-line block ×4, first 2 shown]
	ds_read_b128 v[32:35], v63
	ds_read_b128 v[36:39], v55 offset:432
	s_mov_b32 s4, s0
	s_mov_b32 s6, 0x4755a5e
	;; [unrolled: 1-line block ×9, first 2 shown]
	s_waitcnt lgkmcnt(0)
	s_barrier
	v_add_f64 v[40:41], v[0:1], v[4:5]
	v_add_f64 v[46:47], v[2:3], v[6:7]
	;; [unrolled: 1-line block ×4, first 2 shown]
	v_add_f64 v[70:71], v[10:11], -v[14:15]
	v_add_f64 v[58:59], v[16:17], v[20:21]
	v_add_f64 v[64:65], v[28:29], v[24:25]
	v_add_f64 v[74:75], v[2:3], -v[6:7]
	v_add_f64 v[76:77], v[0:1], -v[4:5]
	v_add_f64 v[66:67], v[18:19], v[22:23]
	v_add_f64 v[68:69], v[30:31], v[26:27]
	v_add_f64 v[86:87], v[8:9], -v[12:13]
	v_add_f64 v[88:89], v[8:9], -v[0:1]
	;; [unrolled: 1-line block ×6, first 2 shown]
	v_add_f64 v[72:73], v[32:33], v[28:29]
	v_add_f64 v[100:101], v[6:7], -v[14:15]
	v_add_f64 v[78:79], v[34:35], v[30:31]
	v_add_f64 v[80:81], v[30:31], -v[26:27]
	v_add_f64 v[82:83], v[28:29], -v[16:17]
	v_fma_f64 v[40:41], v[40:41], -0.5, v[36:37]
	v_fma_f64 v[46:47], v[46:47], -0.5, v[38:39]
	;; [unrolled: 1-line block ×4, first 2 shown]
	v_add_f64 v[36:37], v[36:37], v[8:9]
	v_add_f64 v[8:9], v[0:1], -v[8:9]
	v_add_f64 v[38:39], v[38:39], v[10:11]
	v_add_f64 v[10:11], v[2:3], -v[10:11]
	v_fma_f64 v[58:59], v[58:59], -0.5, v[32:33]
	v_fma_f64 v[32:33], v[64:65], -0.5, v[32:33]
	;; [unrolled: 1-line block ×4, first 2 shown]
	v_add_f64 v[84:85], v[16:17], -v[28:29]
	v_add_f64 v[28:29], v[28:29], -v[24:25]
	v_add_f64 v[88:89], v[88:89], v[90:91]
	v_add_f64 v[90:91], v[20:21], -v[24:25]
	v_add_f64 v[94:95], v[94:95], v[96:97]
	v_add_f64 v[104:105], v[30:31], -v[18:19]
	v_add_f64 v[30:31], v[18:19], -v[30:31]
	;; [unrolled: 1-line block ×3, first 2 shown]
	buffer_gl0_inv
	v_lshlrev_b32_e32 v61, 4, v56
	v_fma_f64 v[98:99], v[70:71], s[0:1], v[40:41]
	v_fma_f64 v[40:41], v[70:71], s[4:5], v[40:41]
	;; [unrolled: 1-line block ×7, first 2 shown]
	v_add_f64 v[8:9], v[8:9], v[92:93]
	v_add_f64 v[92:93], v[18:19], -v[22:23]
	v_fma_f64 v[46:47], v[86:87], s[4:5], v[46:47]
	v_add_f64 v[10:11], v[10:11], v[100:101]
	v_add_f64 v[100:101], v[16:17], -v[20:21]
	v_add_f64 v[16:17], v[72:73], v[16:17]
	v_add_f64 v[18:19], v[78:79], v[18:19]
	;; [unrolled: 1-line block ×4, first 2 shown]
	v_fma_f64 v[72:73], v[80:81], s[0:1], v[58:59]
	v_fma_f64 v[58:59], v[80:81], s[4:5], v[58:59]
	;; [unrolled: 1-line block ×3, first 2 shown]
	v_add_f64 v[38:39], v[84:85], v[90:91]
	v_fma_f64 v[66:67], v[28:29], s[0:1], v[66:67]
	v_add_f64 v[36:37], v[82:83], v[106:107]
	v_fma_f64 v[96:97], v[74:75], s[6:7], v[98:99]
	v_fma_f64 v[40:41], v[74:75], s[8:9], v[40:41]
	;; [unrolled: 1-line block ×7, first 2 shown]
	v_add_f64 v[98:99], v[26:27], -v[22:23]
	v_fma_f64 v[74:75], v[92:93], s[4:5], v[32:33]
	v_fma_f64 v[46:47], v[76:77], s[8:9], v[46:47]
	v_add_f64 v[70:71], v[22:23], -v[26:27]
	v_fma_f64 v[32:33], v[92:93], s[0:1], v[32:33]
	v_fma_f64 v[84:85], v[100:101], s[0:1], v[34:35]
	;; [unrolled: 1-line block ×3, first 2 shown]
	v_add_f64 v[16:17], v[16:17], v[20:21]
	v_add_f64 v[18:19], v[18:19], v[22:23]
	v_add_f64 v[0:1], v[0:1], v[4:5]
	v_add_f64 v[2:3], v[2:3], v[6:7]
	v_fma_f64 v[4:5], v[92:93], s[6:7], v[72:73]
	v_fma_f64 v[6:7], v[92:93], s[8:9], v[58:59]
	;; [unrolled: 1-line block ×10, first 2 shown]
	v_add_f64 v[82:83], v[104:105], v[98:99]
	v_fma_f64 v[20:21], v[80:81], s[6:7], v[74:75]
	v_fma_f64 v[44:45], v[94:95], s[14:15], v[46:47]
	v_add_f64 v[30:31], v[30:31], v[70:71]
	v_fma_f64 v[32:33], v[80:81], s[8:9], v[32:33]
	v_fma_f64 v[68:69], v[28:29], s[8:9], v[84:85]
	v_fma_f64 v[28:29], v[28:29], s[6:7], v[34:35]
	v_fma_f64 v[34:35], v[100:101], s[6:7], v[66:67]
	v_add_f64 v[16:17], v[16:17], v[24:25]
	v_add_f64 v[18:19], v[18:19], v[26:27]
	v_add_f64 v[0:1], v[0:1], v[12:13]
	v_add_f64 v[2:3], v[2:3], v[14:15]
	v_fma_f64 v[24:25], v[36:37], s[14:15], v[4:5]
	v_fma_f64 v[80:81], v[36:37], s[14:15], v[6:7]
	v_mul_f64 v[46:47], v[76:77], s[16:17]
	v_mul_f64 v[58:59], v[76:77], s[8:9]
	;; [unrolled: 1-line block ×8, first 2 shown]
	v_fma_f64 v[26:27], v[38:39], s[14:15], v[20:21]
	v_fma_f64 v[20:21], v[82:83], s[14:15], v[22:23]
	;; [unrolled: 1-line block ×4, first 2 shown]
	v_add_f64 v[4:5], v[16:17], v[0:1]
	v_add_f64 v[6:7], v[18:19], v[2:3]
	v_fma_f64 v[22:23], v[44:45], s[6:7], v[46:47]
	v_fma_f64 v[36:37], v[44:45], s[16:17], v[58:59]
	;; [unrolled: 1-line block ×5, first 2 shown]
	v_fma_f64 v[66:67], v[10:11], s[0:1], -v[66:67]
	v_fma_f64 v[68:69], v[8:9], s[4:5], -v[74:75]
	v_fma_f64 v[64:65], v[82:83], s[14:15], v[34:35]
	v_fma_f64 v[42:43], v[42:43], s[6:7], -v[76:77]
	v_fma_f64 v[40:41], v[40:41], s[8:9], -v[78:79]
	v_add_f64 v[8:9], v[16:17], -v[0:1]
	v_add_f64 v[10:11], v[18:19], -v[2:3]
	v_cmp_gt_u32_e64 s0, 9, v50
	v_add_f64 v[12:13], v[24:25], v[22:23]
	v_add_f64 v[14:15], v[20:21], v[36:37]
	v_add_f64 v[16:17], v[24:25], -v[22:23]
	v_add_f64 v[18:19], v[20:21], -v[36:37]
	v_add_f64 v[20:21], v[26:27], v[44:45]
	v_add_f64 v[22:23], v[32:33], v[46:47]
	;; [unrolled: 1-line block ×4, first 2 shown]
	v_add_f64 v[24:25], v[26:27], -v[44:45]
	v_add_f64 v[26:27], v[32:33], -v[46:47]
	v_add_f64 v[32:33], v[80:81], v[42:43]
	v_add_f64 v[34:35], v[64:65], v[40:41]
	v_add_f64 v[36:37], v[38:39], -v[66:67]
	v_add_f64 v[38:39], v[58:59], -v[68:69]
	v_add_f64 v[0:1], v[80:81], -v[42:43]
	v_add_f64 v[2:3], v[64:65], -v[40:41]
	v_mad_u32_u24 v40, 0x90, v50, v55
	v_lshl_add_u32 v64, v57, 4, v62
	v_lshl_add_u32 v65, v54, 4, v62
                                        ; implicit-def: $vgpr46_vgpr47
	ds_write_b128 v40, v[4:7]
	ds_write_b128 v40, v[8:11] offset:80
	ds_write_b128 v40, v[12:15] offset:16
	;; [unrolled: 1-line block ×9, first 2 shown]
	s_waitcnt lgkmcnt(0)
	s_barrier
	buffer_gl0_inv
	ds_read_b128 v[8:11], v63
	ds_read_b128 v[40:43], v55 offset:1440
	ds_read_b128 v[36:39], v55 offset:2880
	;; [unrolled: 1-line block ×3, first 2 shown]
	ds_read_b128 v[4:7], v64
	ds_read_b128 v[28:31], v55 offset:1872
	ds_read_b128 v[20:23], v55 offset:2304
	ds_read_b128 v[12:15], v65
	ds_read_b128 v[24:27], v55 offset:3744
                                        ; implicit-def: $vgpr34_vgpr35
	s_and_saveexec_b32 s1, s0
	s_cbranch_execz .LBB0_15
; %bb.14:
	v_add3_u32 v0, 0, v61, v60
	ds_read_b128 v[0:3], v0
	ds_read_b128 v[32:35], v55 offset:2736
	ds_read_b128 v[44:47], v55 offset:4176
.LBB0_15:
	s_or_b32 exec_lo, exec_lo, s1
	v_and_b32_e32 v58, 0xff, v50
	v_mov_b32_e32 v87, 5
	s_mov_b32 s4, 0xe8584caa
	s_mov_b32 s5, 0x3febb67a
	;; [unrolled: 1-line block ×3, first 2 shown]
	v_mul_lo_u16 v58, 0xcd, v58
	s_mov_b32 s6, s4
	v_lshrrev_b16 v105, 11, v58
	v_mul_lo_u16 v58, v105, 10
	v_and_b32_e32 v112, 0xffff, v105
	v_sub_nc_u16 v109, v50, v58
	v_and_b32_e32 v58, 0xff, v54
	v_lshlrev_b32_sdwa v66, v87, v109 dst_sel:DWORD dst_unused:UNUSED_PAD src0_sel:DWORD src1_sel:BYTE_0
	v_mul_lo_u16 v58, 0xcd, v58
	s_clause 0x1
	global_load_dwordx4 v[67:70], v66, s[12:13]
	global_load_dwordx4 v[71:74], v66, s[12:13] offset:16
	v_lshrrev_b16 v106, 11, v58
	v_and_b32_e32 v58, 0xff, v57
	v_mul_lo_u16 v59, v106, 10
	v_mul_lo_u16 v75, 0xcd, v58
	v_and_b32_e32 v113, 0xffff, v106
	v_sub_nc_u16 v110, v54, v59
	v_and_b32_e32 v59, 0xff, v56
	v_lshrrev_b16 v107, 11, v75
	v_lshlrev_b32_sdwa v79, v87, v110 dst_sel:DWORD dst_unused:UNUSED_PAD src0_sel:DWORD src1_sel:BYTE_0
	v_mul_lo_u16 v66, 0xcd, v59
	v_mul_lo_u16 v80, v107, 10
	v_and_b32_e32 v114, 0xffff, v107
	global_load_dwordx4 v[75:78], v79, s[12:13]
	v_lshrrev_b16 v66, 11, v66
	v_sub_nc_u16 v111, v57, v80
	v_mul_lo_u16 v66, v66, 10
	v_lshlrev_b32_sdwa v88, v87, v111 dst_sel:DWORD dst_unused:UNUSED_PAD src0_sel:DWORD src1_sel:BYTE_0
	s_clause 0x1
	global_load_dwordx4 v[79:82], v79, s[12:13] offset:16
	global_load_dwordx4 v[83:86], v88, s[12:13]
	v_sub_nc_u16 v66, v56, v66
	v_lshlrev_b32_sdwa v95, v87, v66 dst_sel:DWORD dst_unused:UNUSED_PAD src0_sel:DWORD src1_sel:BYTE_0
	s_clause 0x2
	global_load_dwordx4 v[87:90], v88, s[12:13] offset:16
	global_load_dwordx4 v[91:94], v95, s[12:13]
	global_load_dwordx4 v[95:98], v95, s[12:13] offset:16
	s_waitcnt vmcnt(0) lgkmcnt(0)
	s_barrier
	buffer_gl0_inv
	v_mul_f64 v[99:100], v[42:43], v[69:70]
	v_mul_f64 v[69:70], v[40:41], v[69:70]
	;; [unrolled: 1-line block ×5, first 2 shown]
	v_fma_f64 v[40:41], v[40:41], v[67:68], -v[99:100]
	v_fma_f64 v[42:43], v[42:43], v[67:68], v[69:70]
	v_mul_f64 v[67:68], v[28:29], v[77:78]
	v_fma_f64 v[36:37], v[36:37], v[71:72], -v[101:102]
	v_fma_f64 v[38:39], v[38:39], v[71:72], v[73:74]
	v_mul_f64 v[69:70], v[18:19], v[81:82]
	v_mul_f64 v[77:78], v[16:17], v[81:82]
	v_mul_f64 v[81:82], v[22:23], v[85:86]
	v_mul_f64 v[71:72], v[20:21], v[85:86]
	v_mul_f64 v[73:74], v[26:27], v[89:90]
	v_mul_f64 v[85:86], v[24:25], v[89:90]
	v_mul_f64 v[89:90], v[34:35], v[93:94]
	v_fma_f64 v[28:29], v[28:29], v[75:76], -v[103:104]
	v_fma_f64 v[30:31], v[30:31], v[75:76], v[67:68]
	v_mul_f64 v[67:68], v[32:33], v[93:94]
	v_mul_f64 v[75:76], v[46:47], v[97:98]
	;; [unrolled: 1-line block ×3, first 2 shown]
	v_fma_f64 v[16:17], v[16:17], v[79:80], -v[69:70]
	v_fma_f64 v[18:19], v[18:19], v[79:80], v[77:78]
	v_fma_f64 v[20:21], v[20:21], v[83:84], -v[81:82]
	v_fma_f64 v[22:23], v[22:23], v[83:84], v[71:72]
	v_add_f64 v[71:72], v[42:43], v[38:39]
	v_fma_f64 v[69:70], v[24:25], v[87:88], -v[73:74]
	v_fma_f64 v[25:26], v[26:27], v[87:88], v[85:86]
	v_fma_f64 v[32:33], v[32:33], v[91:92], -v[89:90]
	v_add_f64 v[85:86], v[8:9], v[40:41]
	v_add_f64 v[87:88], v[10:11], v[42:43]
	;; [unrolled: 1-line block ×3, first 2 shown]
	v_add_f64 v[42:43], v[42:43], -v[38:39]
	v_fma_f64 v[34:35], v[34:35], v[91:92], v[67:68]
	v_fma_f64 v[44:45], v[44:45], v[95:96], -v[75:76]
	v_fma_f64 v[46:47], v[46:47], v[95:96], v[93:94]
	v_add_f64 v[67:68], v[40:41], v[36:37]
	v_add_f64 v[91:92], v[14:15], v[30:31]
	v_add_f64 v[40:41], v[40:41], -v[36:37]
	v_add_f64 v[73:74], v[28:29], v[16:17]
	v_add_f64 v[75:76], v[30:31], v[18:19]
	;; [unrolled: 1-line block ×4, first 2 shown]
	v_fma_f64 v[71:72], v[71:72], -0.5, v[10:11]
	v_add_f64 v[101:102], v[30:31], -v[18:19]
	v_add_f64 v[103:104], v[28:29], -v[16:17]
	v_mov_b32_e32 v24, 4
	v_add_f64 v[77:78], v[20:21], v[69:70]
	v_add_f64 v[79:80], v[22:23], v[25:26]
	;; [unrolled: 1-line block ×3, first 2 shown]
	v_add_f64 v[22:23], v[22:23], -v[25:26]
	v_add_f64 v[20:21], v[20:21], -v[69:70]
	v_add_f64 v[99:100], v[2:3], v[34:35]
	v_add_f64 v[81:82], v[32:33], v[44:45]
	;; [unrolled: 1-line block ×3, first 2 shown]
	v_fma_f64 v[67:68], v[67:68], -0.5, v[8:9]
	v_add_f64 v[105:106], v[34:35], -v[46:47]
	v_add_f64 v[107:108], v[32:33], -v[44:45]
	v_fma_f64 v[73:74], v[73:74], -0.5, v[12:13]
	v_fma_f64 v[75:76], v[75:76], -0.5, v[14:15]
	v_add_f64 v[8:9], v[89:90], v[16:17]
	v_add_f64 v[10:11], v[91:92], v[18:19]
	;; [unrolled: 1-line block ×4, first 2 shown]
	v_fma_f64 v[27:28], v[40:41], s[6:7], v[71:72]
	v_fma_f64 v[31:32], v[40:41], s[4:5], v[71:72]
	v_lshlrev_b32_sdwa v72, v24, v110 dst_sel:DWORD dst_unused:UNUSED_PAD src0_sel:DWORD src1_sel:BYTE_0
	v_fma_f64 v[77:78], v[77:78], -0.5, v[4:5]
	v_fma_f64 v[79:80], v[79:80], -0.5, v[6:7]
	v_add_f64 v[4:5], v[85:86], v[36:37]
	v_add_f64 v[6:7], v[87:88], v[38:39]
	v_mad_u32_u24 v71, 0x1e0, v114, 0
	v_fma_f64 v[81:82], v[81:82], -0.5, v[0:1]
	v_fma_f64 v[83:84], v[83:84], -0.5, v[2:3]
	v_add_f64 v[0:1], v[97:98], v[44:45]
	v_add_f64 v[2:3], v[99:100], v[46:47]
	v_fma_f64 v[25:26], v[42:43], s[4:5], v[67:68]
	v_fma_f64 v[29:30], v[42:43], s[6:7], v[67:68]
	v_fma_f64 v[33:34], v[101:102], s[4:5], v[73:74]
	v_fma_f64 v[35:36], v[103:104], s[6:7], v[75:76]
	v_fma_f64 v[37:38], v[101:102], s[6:7], v[73:74]
	v_fma_f64 v[39:40], v[103:104], s[4:5], v[75:76]
	v_mad_u32_u24 v45, 0x1e0, v112, 0
	v_lshlrev_b32_sdwa v47, v24, v109 dst_sel:DWORD dst_unused:UNUSED_PAD src0_sel:DWORD src1_sel:BYTE_0
	v_mad_u32_u24 v46, 0x1e0, v113, 0
	v_lshlrev_b32_sdwa v73, v24, v111 dst_sel:DWORD dst_unused:UNUSED_PAD src0_sel:DWORD src1_sel:BYTE_0
	v_fma_f64 v[41:42], v[22:23], s[4:5], v[77:78]
	v_fma_f64 v[67:68], v[22:23], s[6:7], v[77:78]
	;; [unrolled: 1-line block ×4, first 2 shown]
	v_add3_u32 v45, v45, v47, v60
	v_add3_u32 v46, v46, v72, v60
	;; [unrolled: 1-line block ×3, first 2 shown]
	ds_write_b128 v45, v[4:7]
	ds_write_b128 v45, v[25:28] offset:160
	ds_write_b128 v45, v[29:32] offset:320
	ds_write_b128 v46, v[8:11]
	ds_write_b128 v46, v[33:36] offset:160
	ds_write_b128 v46, v[37:40] offset:320
	;; [unrolled: 3-line block ×3, first 2 shown]
	v_fma_f64 v[16:17], v[105:106], s[4:5], v[81:82]
	v_fma_f64 v[20:21], v[105:106], s[6:7], v[81:82]
	;; [unrolled: 1-line block ×4, first 2 shown]
	s_and_saveexec_b32 s1, s0
	s_cbranch_execz .LBB0_17
; %bb.16:
	v_lshlrev_b32_sdwa v4, v24, v66 dst_sel:DWORD dst_unused:UNUSED_PAD src0_sel:DWORD src1_sel:BYTE_0
	v_add3_u32 v4, 0, v4, v60
	ds_write_b128 v4, v[0:3] offset:3840
	ds_write_b128 v4, v[16:19] offset:4000
	;; [unrolled: 1-line block ×3, first 2 shown]
.LBB0_17:
	s_or_b32 exec_lo, exec_lo, s1
	s_waitcnt lgkmcnt(0)
	s_barrier
	buffer_gl0_inv
	ds_read_b128 v[4:7], v63
	ds_read_b128 v[36:39], v55 offset:1440
	ds_read_b128 v[32:35], v55 offset:2880
	;; [unrolled: 1-line block ×3, first 2 shown]
	ds_read_b128 v[12:15], v64
	ds_read_b128 v[28:31], v55 offset:1872
	ds_read_b128 v[40:43], v55 offset:2304
	ds_read_b128 v[8:11], v65
	ds_read_b128 v[44:47], v55 offset:3744
	s_and_saveexec_b32 s1, s0
	s_cbranch_execz .LBB0_19
; %bb.18:
	v_add3_u32 v0, 0, v61, v60
	ds_read_b128 v[0:3], v0
	ds_read_b128 v[16:19], v55 offset:2736
	ds_read_b128 v[20:23], v55 offset:4176
.LBB0_19:
	s_or_b32 exec_lo, exec_lo, s1
	v_lshlrev_b32_e32 v71, 1, v50
	v_mul_lo_u16 v58, 0x89, v58
	v_mov_b32_e32 v72, 0
	v_mul_lo_u16 v66, 0x89, v59
	v_add_nc_u32_e32 v67, -3, v50
	v_cmp_gt_u32_e64 s1, 3, v50
	v_lshrrev_b16 v115, 12, v58
	v_lshlrev_b64 v[58:59], 4, v[71:72]
	v_lshrrev_b16 v66, 12, v66
	v_mov_b32_e32 v75, 5
	v_cndmask_b32_e64 v116, v67, v54, s1
	v_mul_lo_u16 v67, v115, 30
	s_mov_b32 s6, s4
	v_add_co_u32 v58, s1, s12, v58
	v_add_co_ci_u32_e64 v59, s1, s13, v59, s1
	v_sub_nc_u16 v117, v57, v67
	v_lshlrev_b32_e32 v71, 1, v116
	v_mul_lo_u16 v66, v66, 30
	global_load_dwordx4 v[67:70], v[58:59], off offset:320
	v_lshlrev_b32_sdwa v81, v75, v117 dst_sel:DWORD dst_unused:UNUSED_PAD src0_sel:DWORD src1_sel:BYTE_0
	v_lshlrev_b64 v[79:80], 4, v[71:72]
	v_sub_nc_u16 v66, v56, v66
	global_load_dwordx4 v[71:74], v[58:59], off offset:336
	v_lshlrev_b32_sdwa v87, v75, v66 dst_sel:DWORD dst_unused:UNUSED_PAD src0_sel:DWORD src1_sel:BYTE_0
	global_load_dwordx4 v[75:78], v81, s[12:13] offset:320
	v_add_co_u32 v95, s1, s12, v79
	v_add_co_ci_u32_e64 v96, s1, s13, v80, s1
	s_clause 0x4
	global_load_dwordx4 v[79:82], v81, s[12:13] offset:336
	global_load_dwordx4 v[83:86], v87, s[12:13] offset:320
	;; [unrolled: 1-line block ×3, first 2 shown]
	global_load_dwordx4 v[91:94], v[95:96], off offset:320
	global_load_dwordx4 v[95:98], v[95:96], off offset:336
	v_cmp_lt_u32_e64 s1, 2, v50
	s_waitcnt vmcnt(0) lgkmcnt(0)
	s_barrier
	buffer_gl0_inv
	v_mul_f64 v[99:100], v[38:39], v[69:70]
	v_mul_f64 v[69:70], v[36:37], v[69:70]
	;; [unrolled: 1-line block ×14, first 2 shown]
	v_fma_f64 v[36:37], v[36:37], v[67:68], -v[99:100]
	v_fma_f64 v[38:39], v[38:39], v[67:68], v[69:70]
	v_mul_f64 v[67:68], v[16:17], v[85:86]
	v_mul_f64 v[69:70], v[20:21], v[89:90]
	v_fma_f64 v[32:33], v[32:33], v[71:72], -v[101:102]
	v_fma_f64 v[34:35], v[34:35], v[71:72], v[73:74]
	v_fma_f64 v[40:41], v[40:41], v[75:76], -v[103:104]
	v_fma_f64 v[42:43], v[42:43], v[75:76], v[77:78]
	;; [unrolled: 2-line block ×3, first 2 shown]
	v_fma_f64 v[71:72], v[16:17], v[83:84], -v[107:108]
	v_fma_f64 v[73:74], v[20:21], v[87:88], -v[109:110]
	;; [unrolled: 1-line block ×4, first 2 shown]
	v_fma_f64 v[30:31], v[30:31], v[91:92], v[93:94]
	v_fma_f64 v[26:27], v[26:27], v[95:96], v[97:98]
	v_cndmask_b32_e64 v103, 0, 0x5a0, s1
	v_mov_b32_e32 v16, 4
	v_add_f64 v[79:80], v[4:5], v[36:37]
	v_and_b32_e32 v104, 0xffff, v115
	v_fma_f64 v[17:18], v[18:19], v[83:84], v[67:68]
	v_fma_f64 v[21:22], v[22:23], v[87:88], v[69:70]
	v_add_f64 v[83:84], v[6:7], v[38:39]
	v_add_f64 v[19:20], v[36:37], v[32:33]
	;; [unrolled: 1-line block ×3, first 2 shown]
	v_add_f64 v[38:39], v[38:39], -v[34:35]
	v_add_f64 v[36:37], v[36:37], -v[32:33]
	v_add_f64 v[89:90], v[12:13], v[40:41]
	v_add_f64 v[91:92], v[14:15], v[42:43]
	;; [unrolled: 1-line block ×10, first 2 shown]
	v_add_f64 v[42:43], v[42:43], -v[46:47]
	v_add_f64 v[40:41], v[40:41], -v[44:45]
	;; [unrolled: 1-line block ×3, first 2 shown]
	v_add_f64 v[95:96], v[2:3], v[17:18]
	v_add_f64 v[87:88], v[17:18], v[21:22]
	v_add_f64 v[101:102], v[17:18], -v[21:22]
	v_fma_f64 v[4:5], v[19:20], -0.5, v[4:5]
	v_fma_f64 v[6:7], v[67:68], -0.5, v[6:7]
	v_add_f64 v[17:18], v[89:90], v[44:45]
	v_add_f64 v[19:20], v[91:92], v[46:47]
	v_fma_f64 v[67:68], v[69:70], -0.5, v[12:13]
	v_fma_f64 v[69:70], v[75:76], -0.5, v[14:15]
	v_add_f64 v[75:76], v[30:31], -v[26:27]
	v_add_f64 v[12:13], v[79:80], v[32:33]
	v_add_f64 v[14:15], v[83:84], v[34:35]
	v_fma_f64 v[8:9], v[77:78], -0.5, v[8:9]
	v_add_f64 v[77:78], v[28:29], -v[24:25]
	v_fma_f64 v[10:11], v[81:82], -0.5, v[10:11]
	v_fma_f64 v[81:82], v[85:86], -0.5, v[0:1]
	v_add_f64 v[0:1], v[93:94], v[73:74]
	v_add_nc_u32_e32 v45, 0, v103
	v_lshlrev_b32_e32 v46, 4, v116
	v_mad_u32_u24 v47, 0x5a0, v104, 0
	v_fma_f64 v[79:80], v[87:88], -0.5, v[2:3]
	v_add_f64 v[2:3], v[95:96], v[21:22]
	v_add_f64 v[21:22], v[97:98], v[24:25]
	;; [unrolled: 1-line block ×3, first 2 shown]
	v_fma_f64 v[25:26], v[38:39], s[4:5], v[4:5]
	v_fma_f64 v[29:30], v[38:39], s[6:7], v[4:5]
	;; [unrolled: 1-line block ×4, first 2 shown]
	v_add3_u32 v45, v45, v46, v60
	v_fma_f64 v[33:34], v[42:43], s[4:5], v[67:68]
	v_fma_f64 v[37:38], v[42:43], s[6:7], v[67:68]
	;; [unrolled: 1-line block ×12, first 2 shown]
	v_lshlrev_b32_sdwa v71, v16, v117 dst_sel:DWORD dst_unused:UNUSED_PAD src0_sel:DWORD src1_sel:BYTE_0
	v_add3_u32 v46, v47, v71, v60
	ds_write_b128 v55, v[12:15]
	ds_write_b128 v55, v[25:28] offset:480
	ds_write_b128 v55, v[29:32] offset:960
	ds_write_b128 v45, v[21:24]
	ds_write_b128 v45, v[41:44] offset:480
	ds_write_b128 v45, v[67:70] offset:960
	;; [unrolled: 3-line block ×3, first 2 shown]
	s_and_saveexec_b32 s1, s0
	s_cbranch_execz .LBB0_21
; %bb.20:
	v_lshlrev_b32_sdwa v12, v16, v66 dst_sel:DWORD dst_unused:UNUSED_PAD src0_sel:DWORD src1_sel:BYTE_0
	v_add3_u32 v12, 0, v12, v60
	ds_write_b128 v12, v[0:3] offset:2880
	ds_write_b128 v12, v[4:7] offset:3360
	;; [unrolled: 1-line block ×3, first 2 shown]
.LBB0_21:
	s_or_b32 exec_lo, exec_lo, s1
	s_waitcnt lgkmcnt(0)
	s_barrier
	buffer_gl0_inv
	ds_read_b128 v[16:19], v63
	ds_read_b128 v[32:35], v55 offset:1440
	ds_read_b128 v[36:39], v55 offset:2880
	;; [unrolled: 1-line block ×3, first 2 shown]
	ds_read_b128 v[12:15], v64
	ds_read_b128 v[44:47], v55 offset:1872
	ds_read_b128 v[28:31], v55 offset:2304
	ds_read_b128 v[20:23], v65
	ds_read_b128 v[40:43], v55 offset:3744
	s_and_saveexec_b32 s1, s0
	s_cbranch_execz .LBB0_23
; %bb.22:
	v_add3_u32 v0, 0, v61, v60
	ds_read_b128 v[0:3], v0
	ds_read_b128 v[4:7], v55 offset:2736
	ds_read_b128 v[8:11], v55 offset:4176
.LBB0_23:
	s_or_b32 exec_lo, exec_lo, s1
	v_lshlrev_b32_e32 v60, 1, v54
	v_mov_b32_e32 v61, 0
	s_clause 0x1
	global_load_dwordx4 v[66:69], v[58:59], off offset:1280
	global_load_dwordx4 v[70:73], v[58:59], off offset:1296
	s_mov_b32 s6, s4
	v_lshlrev_b64 v[74:75], 4, v[60:61]
	v_lshlrev_b32_e32 v60, 1, v57
	v_lshlrev_b64 v[58:59], 4, v[60:61]
	v_add_co_u32 v78, s1, s12, v74
	v_add_co_ci_u32_e64 v79, s1, s13, v75, s1
	v_add_co_u32 v58, s1, s12, v58
	v_add_co_ci_u32_e64 v59, s1, s13, v59, s1
	s_clause 0x3
	global_load_dwordx4 v[74:77], v[78:79], off offset:1280
	global_load_dwordx4 v[78:81], v[78:79], off offset:1296
	;; [unrolled: 1-line block ×4, first 2 shown]
	s_waitcnt vmcnt(0) lgkmcnt(0)
	s_barrier
	buffer_gl0_inv
	v_mul_f64 v[58:59], v[34:35], v[68:69]
	v_mul_f64 v[90:91], v[38:39], v[72:73]
	;; [unrolled: 1-line block ×12, first 2 shown]
	v_fma_f64 v[32:33], v[32:33], v[66:67], -v[58:59]
	v_fma_f64 v[36:37], v[36:37], v[70:71], -v[90:91]
	v_fma_f64 v[34:35], v[34:35], v[66:67], v[68:69]
	v_fma_f64 v[38:39], v[38:39], v[70:71], v[72:73]
	v_fma_f64 v[44:45], v[44:45], v[74:75], -v[92:93]
	v_fma_f64 v[24:25], v[24:25], v[78:79], -v[94:95]
	v_fma_f64 v[46:47], v[46:47], v[74:75], v[76:77]
	v_fma_f64 v[26:27], v[26:27], v[78:79], v[80:81]
	;; [unrolled: 4-line block ×3, first 2 shown]
	v_add_f64 v[76:77], v[16:17], v[32:33]
	v_add_f64 v[58:59], v[32:33], v[36:37]
	v_add_f64 v[32:33], v[32:33], -v[36:37]
	v_add_f64 v[66:67], v[34:35], v[38:39]
	v_add_f64 v[78:79], v[34:35], -v[38:39]
	v_add_f64 v[34:35], v[18:19], v[34:35]
	v_add_f64 v[80:81], v[20:21], v[44:45]
	;; [unrolled: 1-line block ×5, first 2 shown]
	v_add_f64 v[46:47], v[46:47], -v[26:27]
	v_add_f64 v[72:73], v[28:29], v[40:41]
	v_add_f64 v[44:45], v[44:45], -v[24:25]
	v_add_f64 v[74:75], v[30:31], v[42:43]
	v_add_f64 v[84:85], v[12:13], v[28:29]
	v_fma_f64 v[58:59], v[58:59], -0.5, v[16:17]
	v_add_f64 v[86:87], v[14:15], v[30:31]
	v_fma_f64 v[66:67], v[66:67], -0.5, v[18:19]
	v_add_f64 v[88:89], v[30:31], -v[42:43]
	v_add_f64 v[90:91], v[28:29], -v[40:41]
	v_add_f64 v[16:17], v[80:81], v[24:25]
	v_fma_f64 v[68:69], v[68:69], -0.5, v[20:21]
	v_add_f64 v[18:19], v[82:83], v[26:27]
	v_fma_f64 v[70:71], v[70:71], -0.5, v[22:23]
	v_fma_f64 v[72:73], v[72:73], -0.5, v[12:13]
	v_add_f64 v[12:13], v[76:77], v[36:37]
	v_fma_f64 v[74:75], v[74:75], -0.5, v[14:15]
	v_add_f64 v[14:15], v[34:35], v[38:39]
	v_fma_f64 v[24:25], v[78:79], s[4:5], v[58:59]
	v_fma_f64 v[28:29], v[78:79], s[6:7], v[58:59]
	;; [unrolled: 1-line block ×4, first 2 shown]
	v_add_f64 v[20:21], v[84:85], v[40:41]
	v_add_f64 v[22:23], v[86:87], v[42:43]
	v_fma_f64 v[32:33], v[46:47], s[4:5], v[68:69]
	v_fma_f64 v[36:37], v[46:47], s[6:7], v[68:69]
	;; [unrolled: 1-line block ×8, first 2 shown]
	ds_write_b128 v55, v[12:15]
	ds_write_b128 v55, v[24:27] offset:1440
	ds_write_b128 v55, v[28:31] offset:2880
	ds_write_b128 v65, v[16:19]
	ds_write_b128 v65, v[32:35] offset:1440
	ds_write_b128 v65, v[36:39] offset:2880
	;; [unrolled: 3-line block ×3, first 2 shown]
	s_and_saveexec_b32 s1, s0
	s_cbranch_execz .LBB0_25
; %bb.24:
	v_add_nc_u32_e32 v12, -9, v50
	v_cndmask_b32_e64 v12, v12, v56, s0
	v_lshlrev_b32_e32 v60, 1, v12
	v_lshlrev_b64 v[12:13], 4, v[60:61]
	v_add_co_u32 v16, s0, s12, v12
	v_add_co_ci_u32_e64 v17, s0, s13, v13, s0
	s_clause 0x1
	global_load_dwordx4 v[12:15], v[16:17], off offset:1280
	global_load_dwordx4 v[16:19], v[16:17], off offset:1296
	s_waitcnt vmcnt(1)
	v_mul_f64 v[20:21], v[4:5], v[14:15]
	s_waitcnt vmcnt(0)
	v_mul_f64 v[22:23], v[8:9], v[18:19]
	v_mul_f64 v[14:15], v[6:7], v[14:15]
	;; [unrolled: 1-line block ×3, first 2 shown]
	v_fma_f64 v[6:7], v[6:7], v[12:13], v[20:21]
	v_fma_f64 v[10:11], v[10:11], v[16:17], v[22:23]
	v_fma_f64 v[4:5], v[4:5], v[12:13], -v[14:15]
	v_fma_f64 v[8:9], v[8:9], v[16:17], -v[18:19]
	v_add_f64 v[18:19], v[2:3], v[6:7]
	v_add_f64 v[12:13], v[6:7], v[10:11]
	v_add_f64 v[20:21], v[6:7], -v[10:11]
	v_add_f64 v[14:15], v[4:5], v[8:9]
	v_add_f64 v[16:17], v[4:5], -v[8:9]
	v_add_f64 v[4:5], v[0:1], v[4:5]
	v_fma_f64 v[12:13], v[12:13], -0.5, v[2:3]
	v_add_f64 v[2:3], v[18:19], v[10:11]
	v_fma_f64 v[14:15], v[14:15], -0.5, v[0:1]
	v_add_f64 v[0:1], v[4:5], v[8:9]
	v_fma_f64 v[10:11], v[16:17], s[6:7], v[12:13]
	v_fma_f64 v[6:7], v[16:17], s[4:5], v[12:13]
	;; [unrolled: 1-line block ×4, first 2 shown]
	ds_write_b128 v55, v[0:3] offset:1296
	ds_write_b128 v55, v[8:11] offset:2736
	;; [unrolled: 1-line block ×3, first 2 shown]
.LBB0_25:
	s_or_b32 exec_lo, exec_lo, s1
	s_waitcnt lgkmcnt(0)
	s_barrier
	buffer_gl0_inv
	ds_read_b128 v[0:3], v63
	v_sub_nc_u32_e32 v10, v62, v51
	s_add_u32 s1, s12, 0x1040
	s_addc_u32 s4, s13, 0
	s_mov_b32 s5, exec_lo
                                        ; implicit-def: $vgpr6_vgpr7
                                        ; implicit-def: $vgpr8_vgpr9
                                        ; implicit-def: $vgpr4_vgpr5
	v_cmpx_ne_u32_e32 0, v50
	s_xor_b32 s5, exec_lo, s5
	s_cbranch_execz .LBB0_27
; %bb.26:
	v_mov_b32_e32 v51, 0
	ds_read_b128 v[11:14], v10 offset:4320
	v_lshlrev_b64 v[4:5], 4, v[50:51]
	v_add_co_u32 v4, s0, s1, v4
	v_add_co_ci_u32_e64 v5, s0, s4, v5, s0
	global_load_dwordx4 v[4:7], v[4:5], off
	s_waitcnt lgkmcnt(0)
	v_add_f64 v[8:9], v[0:1], -v[11:12]
	v_add_f64 v[15:16], v[2:3], v[13:14]
	v_add_f64 v[2:3], v[2:3], -v[13:14]
	v_add_f64 v[0:1], v[0:1], v[11:12]
	v_mul_f64 v[8:9], v[8:9], 0.5
	v_mul_f64 v[13:14], v[15:16], 0.5
	;; [unrolled: 1-line block ×3, first 2 shown]
	s_waitcnt vmcnt(0)
	v_mul_f64 v[11:12], v[8:9], v[6:7]
	v_fma_f64 v[15:16], v[13:14], v[6:7], v[2:3]
	v_fma_f64 v[2:3], v[13:14], v[6:7], -v[2:3]
	v_fma_f64 v[6:7], v[0:1], 0.5, v[11:12]
	v_fma_f64 v[0:1], v[0:1], 0.5, -v[11:12]
	v_fma_f64 v[11:12], -v[4:5], v[8:9], v[15:16]
	v_fma_f64 v[2:3], -v[4:5], v[8:9], v[2:3]
	ds_write_b64 v63, v[11:12] offset:8
	ds_write_b64 v10, v[2:3] offset:4328
	v_fma_f64 v[8:9], v[13:14], v[4:5], v[6:7]
	v_fma_f64 v[6:7], -v[13:14], v[4:5], v[0:1]
	v_mov_b32_e32 v4, v50
	v_mov_b32_e32 v5, v51
                                        ; implicit-def: $vgpr0_vgpr1
.LBB0_27:
	s_andn2_saveexec_b32 s0, s5
	s_cbranch_execz .LBB0_29
; %bb.28:
	s_mov_b32 s6, 0
	s_waitcnt lgkmcnt(0)
	v_add_f64 v[8:9], v[0:1], v[2:3]
	s_mov_b32 s7, s6
	v_mov_b32_e32 v4, s6
	v_mov_b32_e32 v5, s7
	v_add_f64 v[6:7], v[0:1], -v[2:3]
	ds_write_b64 v63, v[4:5] offset:8
	ds_write_b64 v10, v[4:5] offset:4328
	ds_read_b64 v[11:12], v62 offset:2168
	v_mov_b32_e32 v4, 0
	v_mov_b32_e32 v5, 0
	s_waitcnt lgkmcnt(0)
	v_xor_b32_e32 v12, 0x80000000, v12
	ds_write_b64 v62, v[11:12] offset:2168
.LBB0_29:
	s_or_b32 exec_lo, exec_lo, s0
	v_mov_b32_e32 v55, 0
	ds_write_b64 v63, v[8:9]
	ds_write_b64 v10, v[6:7] offset:4320
	s_waitcnt lgkmcnt(2)
	v_lshlrev_b64 v[0:1], 4, v[54:55]
	v_mov_b32_e32 v58, v55
	v_lshlrev_b64 v[11:12], 4, v[57:58]
	v_add_co_u32 v0, s0, s1, v0
	v_add_co_ci_u32_e64 v1, s0, s4, v1, s0
	v_mov_b32_e32 v57, v55
	v_add_co_u32 v11, s0, s1, v11
	global_load_dwordx4 v[0:3], v[0:1], off
	v_add_co_ci_u32_e64 v12, s0, s4, v12, s0
	v_lshlrev_b64 v[19:20], 4, v[56:57]
	global_load_dwordx4 v[11:14], v[11:12], off
	ds_read_b128 v[6:9], v65
	ds_read_b128 v[15:18], v10 offset:3888
	v_add_co_u32 v19, s0, s1, v19
	v_add_co_ci_u32_e64 v20, s0, s4, v20, s0
	global_load_dwordx4 v[19:22], v[19:20], off
	s_waitcnt lgkmcnt(0)
	v_add_f64 v[23:24], v[6:7], -v[15:16]
	v_add_f64 v[25:26], v[8:9], v[17:18]
	v_add_f64 v[8:9], v[8:9], -v[17:18]
	v_add_f64 v[6:7], v[6:7], v[15:16]
	v_mul_f64 v[17:18], v[23:24], 0.5
	v_mul_f64 v[23:24], v[25:26], 0.5
	;; [unrolled: 1-line block ×3, first 2 shown]
	s_waitcnt vmcnt(2)
	v_mul_f64 v[15:16], v[17:18], v[2:3]
	v_fma_f64 v[25:26], v[23:24], v[2:3], v[8:9]
	v_fma_f64 v[2:3], v[23:24], v[2:3], -v[8:9]
	v_fma_f64 v[8:9], v[6:7], 0.5, v[15:16]
	v_fma_f64 v[6:7], v[6:7], 0.5, -v[15:16]
	v_fma_f64 v[15:16], -v[0:1], v[17:18], v[25:26]
	v_fma_f64 v[2:3], -v[0:1], v[17:18], v[2:3]
	v_lshlrev_b64 v[17:18], 4, v[4:5]
	v_fma_f64 v[8:9], v[23:24], v[0:1], v[8:9]
	v_fma_f64 v[0:1], -v[23:24], v[0:1], v[6:7]
	ds_write2_b64 v65, v[8:9], v[15:16] offset1:1
	ds_write_b128 v10, v[0:3] offset:3888
	v_add_co_u32 v8, s0, s1, v17
	ds_read_b128 v[0:3], v64
	ds_read_b128 v[4:7], v10 offset:3456
	v_add_co_ci_u32_e64 v9, s0, s4, v18, s0
	global_load_dwordx4 v[15:18], v[8:9], off offset:1728
	s_waitcnt lgkmcnt(0)
	v_add_f64 v[8:9], v[0:1], -v[4:5]
	v_add_f64 v[23:24], v[2:3], v[6:7]
	v_add_f64 v[2:3], v[2:3], -v[6:7]
	v_add_f64 v[0:1], v[0:1], v[4:5]
	v_mul_f64 v[6:7], v[8:9], 0.5
	v_mul_f64 v[8:9], v[23:24], 0.5
	;; [unrolled: 1-line block ×3, first 2 shown]
	s_waitcnt vmcnt(2)
	v_mul_f64 v[4:5], v[6:7], v[13:14]
	v_fma_f64 v[23:24], v[8:9], v[13:14], v[2:3]
	v_fma_f64 v[2:3], v[8:9], v[13:14], -v[2:3]
	v_fma_f64 v[13:14], v[0:1], 0.5, v[4:5]
	v_fma_f64 v[0:1], v[0:1], 0.5, -v[4:5]
	v_fma_f64 v[4:5], -v[11:12], v[6:7], v[23:24]
	v_fma_f64 v[2:3], -v[11:12], v[6:7], v[2:3]
	v_lshl_add_u32 v23, v56, 4, v62
	v_fma_f64 v[6:7], v[8:9], v[11:12], v[13:14]
	v_fma_f64 v[0:1], -v[8:9], v[11:12], v[0:1]
	ds_write2_b64 v64, v[6:7], v[4:5] offset1:1
	ds_write_b128 v10, v[0:3] offset:3456
	ds_read_b128 v[0:3], v23
	ds_read_b128 v[4:7], v10 offset:3024
	s_waitcnt lgkmcnt(0)
	v_add_f64 v[8:9], v[0:1], -v[4:5]
	v_add_f64 v[11:12], v[2:3], v[6:7]
	v_add_f64 v[2:3], v[2:3], -v[6:7]
	v_add_f64 v[0:1], v[0:1], v[4:5]
	v_mul_f64 v[6:7], v[8:9], 0.5
	v_mul_f64 v[8:9], v[11:12], 0.5
	;; [unrolled: 1-line block ×3, first 2 shown]
	s_waitcnt vmcnt(1)
	v_mul_f64 v[4:5], v[6:7], v[21:22]
	v_fma_f64 v[11:12], v[8:9], v[21:22], v[2:3]
	v_fma_f64 v[2:3], v[8:9], v[21:22], -v[2:3]
	v_fma_f64 v[13:14], v[0:1], 0.5, v[4:5]
	v_fma_f64 v[0:1], v[0:1], 0.5, -v[4:5]
	v_fma_f64 v[4:5], -v[19:20], v[6:7], v[11:12]
	v_fma_f64 v[2:3], -v[19:20], v[6:7], v[2:3]
	v_fma_f64 v[6:7], v[8:9], v[19:20], v[13:14]
	v_fma_f64 v[0:1], -v[8:9], v[19:20], v[0:1]
	ds_write2_b64 v23, v[6:7], v[4:5] offset1:1
	ds_write_b128 v10, v[0:3] offset:3024
	ds_read_b128 v[0:3], v63 offset:1728
	ds_read_b128 v[4:7], v10 offset:2592
	s_waitcnt lgkmcnt(0)
	v_add_f64 v[8:9], v[0:1], -v[4:5]
	v_add_f64 v[11:12], v[2:3], v[6:7]
	v_add_f64 v[2:3], v[2:3], -v[6:7]
	v_add_f64 v[0:1], v[0:1], v[4:5]
	v_mul_f64 v[6:7], v[8:9], 0.5
	v_mul_f64 v[8:9], v[11:12], 0.5
	;; [unrolled: 1-line block ×3, first 2 shown]
	s_waitcnt vmcnt(0)
	v_mul_f64 v[4:5], v[6:7], v[17:18]
	v_fma_f64 v[11:12], v[8:9], v[17:18], v[2:3]
	v_fma_f64 v[2:3], v[8:9], v[17:18], -v[2:3]
	v_fma_f64 v[13:14], v[0:1], 0.5, v[4:5]
	v_fma_f64 v[0:1], v[0:1], 0.5, -v[4:5]
	v_fma_f64 v[4:5], -v[15:16], v[6:7], v[11:12]
	v_fma_f64 v[2:3], -v[15:16], v[6:7], v[2:3]
	v_fma_f64 v[6:7], v[8:9], v[15:16], v[13:14]
	v_fma_f64 v[0:1], -v[8:9], v[15:16], v[0:1]
	ds_write2_b64 v63, v[6:7], v[4:5] offset0:216 offset1:217
	ds_write_b128 v10, v[0:3] offset:2592
	s_waitcnt lgkmcnt(0)
	s_barrier
	buffer_gl0_inv
	s_and_saveexec_b32 s0, vcc_lo
	s_cbranch_execz .LBB0_32
; %bb.30:
	v_mul_lo_u32 v0, s3, v52
	v_mul_lo_u32 v3, s2, v53
	v_mad_u64_u32 v[1:2], null, s2, v52, 0
	v_mov_b32_e32 v51, v55
	v_lshlrev_b64 v[11:12], 4, v[48:49]
	v_add_nc_u32_e32 v54, 27, v50
	v_lshlrev_b64 v[13:14], 4, v[50:51]
	v_add3_u32 v2, v2, v3, v0
	v_lshl_add_u32 v0, v50, 4, v62
	v_lshlrev_b64 v[15:16], 4, v[54:55]
	ds_read_b128 v[3:6], v0
	ds_read_b128 v[7:10], v0 offset:432
	v_lshlrev_b64 v[1:2], 4, v[1:2]
	v_add_nc_u32_e32 v54, 54, v50
	v_add_co_u32 v1, vcc_lo, s10, v1
	v_add_co_ci_u32_e32 v2, vcc_lo, s11, v2, vcc_lo
	v_add_co_u32 v1, vcc_lo, v1, v11
	v_add_co_ci_u32_e32 v2, vcc_lo, v2, v12, vcc_lo
	;; [unrolled: 2-line block ×4, first 2 shown]
	v_lshlrev_b64 v[15:16], 4, v[54:55]
	v_add_nc_u32_e32 v54, 0x51, v50
	s_waitcnt lgkmcnt(1)
	global_store_dwordx4 v[11:12], v[3:6], off
	s_waitcnt lgkmcnt(0)
	global_store_dwordx4 v[13:14], v[7:10], off
	ds_read_b128 v[3:6], v0 offset:864
	ds_read_b128 v[7:10], v0 offset:1296
	v_lshlrev_b64 v[19:20], 4, v[54:55]
	v_add_nc_u32_e32 v54, 0x6c, v50
	v_add_co_u32 v21, vcc_lo, v1, v15
	v_add_co_ci_u32_e32 v22, vcc_lo, v2, v16, vcc_lo
	ds_read_b128 v[11:14], v0 offset:1728
	ds_read_b128 v[15:18], v0 offset:2160
	v_lshlrev_b64 v[23:24], 4, v[54:55]
	v_add_nc_u32_e32 v54, 0x87, v50
	v_add_co_u32 v19, vcc_lo, v1, v19
	v_add_co_ci_u32_e32 v20, vcc_lo, v2, v20, vcc_lo
	v_lshlrev_b64 v[25:26], 4, v[54:55]
	v_add_nc_u32_e32 v54, 0xa2, v50
	v_add_co_u32 v23, vcc_lo, v1, v23
	s_waitcnt lgkmcnt(3)
	global_store_dwordx4 v[21:22], v[3:6], off
	v_add_co_ci_u32_e32 v24, vcc_lo, v2, v24, vcc_lo
	v_lshlrev_b64 v[3:4], 4, v[54:55]
	v_add_nc_u32_e32 v54, 0xbd, v50
	v_add_co_u32 v25, vcc_lo, v1, v25
	v_add_co_ci_u32_e32 v26, vcc_lo, v2, v26, vcc_lo
	v_lshlrev_b64 v[21:22], 4, v[54:55]
	v_add_nc_u32_e32 v54, 0xd8, v50
	s_waitcnt lgkmcnt(2)
	global_store_dwordx4 v[19:20], v[7:10], off
	s_waitcnt lgkmcnt(1)
	global_store_dwordx4 v[23:24], v[11:14], off
	;; [unrolled: 2-line block ×3, first 2 shown]
	v_add_co_u32 v19, vcc_lo, v1, v3
	v_add_co_ci_u32_e32 v20, vcc_lo, v2, v4, vcc_lo
	ds_read_b128 v[3:6], v0 offset:2592
	ds_read_b128 v[7:10], v0 offset:3024
	;; [unrolled: 1-line block ×4, first 2 shown]
	v_lshlrev_b64 v[23:24], 4, v[54:55]
	v_add_nc_u32_e32 v54, 0xf3, v50
	v_add_co_u32 v21, vcc_lo, v1, v21
	v_add_co_ci_u32_e32 v22, vcc_lo, v2, v22, vcc_lo
	v_lshlrev_b64 v[25:26], 4, v[54:55]
	v_add_co_u32 v23, vcc_lo, v1, v23
	v_add_co_ci_u32_e32 v24, vcc_lo, v2, v24, vcc_lo
	v_add_co_u32 v25, vcc_lo, v1, v25
	v_add_co_ci_u32_e32 v26, vcc_lo, v2, v26, vcc_lo
	v_cmp_eq_u32_e32 vcc_lo, 26, v50
	s_waitcnt lgkmcnt(3)
	global_store_dwordx4 v[19:20], v[3:6], off
	s_waitcnt lgkmcnt(2)
	global_store_dwordx4 v[21:22], v[7:10], off
	;; [unrolled: 2-line block ×4, first 2 shown]
	s_and_b32 exec_lo, exec_lo, vcc_lo
	s_cbranch_execz .LBB0_32
; %bb.31:
	ds_read_b128 v[3:6], v0 offset:3904
	v_add_co_u32 v0, vcc_lo, 0x1000, v1
	v_add_co_ci_u32_e32 v1, vcc_lo, 0, v2, vcc_lo
	s_waitcnt lgkmcnt(0)
	global_store_dwordx4 v[0:1], v[3:6], off offset:224
.LBB0_32:
	s_endpgm
	.section	.rodata,"a",@progbits
	.p2align	6, 0x0
	.amdhsa_kernel fft_rtc_fwd_len270_factors_10_3_3_3_wgs_108_tpt_27_halfLds_dp_op_CI_CI_unitstride_sbrr_R2C_dirReg
		.amdhsa_group_segment_fixed_size 0
		.amdhsa_private_segment_fixed_size 0
		.amdhsa_kernarg_size 104
		.amdhsa_user_sgpr_count 6
		.amdhsa_user_sgpr_private_segment_buffer 1
		.amdhsa_user_sgpr_dispatch_ptr 0
		.amdhsa_user_sgpr_queue_ptr 0
		.amdhsa_user_sgpr_kernarg_segment_ptr 1
		.amdhsa_user_sgpr_dispatch_id 0
		.amdhsa_user_sgpr_flat_scratch_init 0
		.amdhsa_user_sgpr_private_segment_size 0
		.amdhsa_wavefront_size32 1
		.amdhsa_uses_dynamic_stack 0
		.amdhsa_system_sgpr_private_segment_wavefront_offset 0
		.amdhsa_system_sgpr_workgroup_id_x 1
		.amdhsa_system_sgpr_workgroup_id_y 0
		.amdhsa_system_sgpr_workgroup_id_z 0
		.amdhsa_system_sgpr_workgroup_info 0
		.amdhsa_system_vgpr_workitem_id 0
		.amdhsa_next_free_vgpr 118
		.amdhsa_next_free_sgpr 27
		.amdhsa_reserve_vcc 1
		.amdhsa_reserve_flat_scratch 0
		.amdhsa_float_round_mode_32 0
		.amdhsa_float_round_mode_16_64 0
		.amdhsa_float_denorm_mode_32 3
		.amdhsa_float_denorm_mode_16_64 3
		.amdhsa_dx10_clamp 1
		.amdhsa_ieee_mode 1
		.amdhsa_fp16_overflow 0
		.amdhsa_workgroup_processor_mode 1
		.amdhsa_memory_ordered 1
		.amdhsa_forward_progress 0
		.amdhsa_shared_vgpr_count 0
		.amdhsa_exception_fp_ieee_invalid_op 0
		.amdhsa_exception_fp_denorm_src 0
		.amdhsa_exception_fp_ieee_div_zero 0
		.amdhsa_exception_fp_ieee_overflow 0
		.amdhsa_exception_fp_ieee_underflow 0
		.amdhsa_exception_fp_ieee_inexact 0
		.amdhsa_exception_int_div_zero 0
	.end_amdhsa_kernel
	.text
.Lfunc_end0:
	.size	fft_rtc_fwd_len270_factors_10_3_3_3_wgs_108_tpt_27_halfLds_dp_op_CI_CI_unitstride_sbrr_R2C_dirReg, .Lfunc_end0-fft_rtc_fwd_len270_factors_10_3_3_3_wgs_108_tpt_27_halfLds_dp_op_CI_CI_unitstride_sbrr_R2C_dirReg
                                        ; -- End function
	.section	.AMDGPU.csdata,"",@progbits
; Kernel info:
; codeLenInByte = 8808
; NumSgprs: 29
; NumVgprs: 118
; ScratchSize: 0
; MemoryBound: 0
; FloatMode: 240
; IeeeMode: 1
; LDSByteSize: 0 bytes/workgroup (compile time only)
; SGPRBlocks: 3
; VGPRBlocks: 14
; NumSGPRsForWavesPerEU: 29
; NumVGPRsForWavesPerEU: 118
; Occupancy: 8
; WaveLimiterHint : 1
; COMPUTE_PGM_RSRC2:SCRATCH_EN: 0
; COMPUTE_PGM_RSRC2:USER_SGPR: 6
; COMPUTE_PGM_RSRC2:TRAP_HANDLER: 0
; COMPUTE_PGM_RSRC2:TGID_X_EN: 1
; COMPUTE_PGM_RSRC2:TGID_Y_EN: 0
; COMPUTE_PGM_RSRC2:TGID_Z_EN: 0
; COMPUTE_PGM_RSRC2:TIDIG_COMP_CNT: 0
	.text
	.p2alignl 6, 3214868480
	.fill 48, 4, 3214868480
	.type	__hip_cuid_3ed7b67806215419,@object ; @__hip_cuid_3ed7b67806215419
	.section	.bss,"aw",@nobits
	.globl	__hip_cuid_3ed7b67806215419
__hip_cuid_3ed7b67806215419:
	.byte	0                               ; 0x0
	.size	__hip_cuid_3ed7b67806215419, 1

	.ident	"AMD clang version 19.0.0git (https://github.com/RadeonOpenCompute/llvm-project roc-6.4.0 25133 c7fe45cf4b819c5991fe208aaa96edf142730f1d)"
	.section	".note.GNU-stack","",@progbits
	.addrsig
	.addrsig_sym __hip_cuid_3ed7b67806215419
	.amdgpu_metadata
---
amdhsa.kernels:
  - .args:
      - .actual_access:  read_only
        .address_space:  global
        .offset:         0
        .size:           8
        .value_kind:     global_buffer
      - .offset:         8
        .size:           8
        .value_kind:     by_value
      - .actual_access:  read_only
        .address_space:  global
        .offset:         16
        .size:           8
        .value_kind:     global_buffer
      - .actual_access:  read_only
        .address_space:  global
        .offset:         24
        .size:           8
        .value_kind:     global_buffer
      - .actual_access:  read_only
        .address_space:  global
        .offset:         32
        .size:           8
        .value_kind:     global_buffer
      - .offset:         40
        .size:           8
        .value_kind:     by_value
      - .actual_access:  read_only
        .address_space:  global
        .offset:         48
        .size:           8
        .value_kind:     global_buffer
      - .actual_access:  read_only
        .address_space:  global
        .offset:         56
        .size:           8
        .value_kind:     global_buffer
      - .offset:         64
        .size:           4
        .value_kind:     by_value
      - .actual_access:  read_only
        .address_space:  global
        .offset:         72
        .size:           8
        .value_kind:     global_buffer
      - .actual_access:  read_only
        .address_space:  global
        .offset:         80
        .size:           8
        .value_kind:     global_buffer
      - .actual_access:  read_only
        .address_space:  global
        .offset:         88
        .size:           8
        .value_kind:     global_buffer
      - .actual_access:  write_only
        .address_space:  global
        .offset:         96
        .size:           8
        .value_kind:     global_buffer
    .group_segment_fixed_size: 0
    .kernarg_segment_align: 8
    .kernarg_segment_size: 104
    .language:       OpenCL C
    .language_version:
      - 2
      - 0
    .max_flat_workgroup_size: 108
    .name:           fft_rtc_fwd_len270_factors_10_3_3_3_wgs_108_tpt_27_halfLds_dp_op_CI_CI_unitstride_sbrr_R2C_dirReg
    .private_segment_fixed_size: 0
    .sgpr_count:     29
    .sgpr_spill_count: 0
    .symbol:         fft_rtc_fwd_len270_factors_10_3_3_3_wgs_108_tpt_27_halfLds_dp_op_CI_CI_unitstride_sbrr_R2C_dirReg.kd
    .uniform_work_group_size: 1
    .uses_dynamic_stack: false
    .vgpr_count:     118
    .vgpr_spill_count: 0
    .wavefront_size: 32
    .workgroup_processor_mode: 1
amdhsa.target:   amdgcn-amd-amdhsa--gfx1030
amdhsa.version:
  - 1
  - 2
...

	.end_amdgpu_metadata
